;; amdgpu-corpus repo=ROCm/rocFFT kind=compiled arch=gfx906 opt=O3
	.text
	.amdgcn_target "amdgcn-amd-amdhsa--gfx906"
	.amdhsa_code_object_version 6
	.protected	bluestein_single_back_len750_dim1_sp_op_CI_CI ; -- Begin function bluestein_single_back_len750_dim1_sp_op_CI_CI
	.globl	bluestein_single_back_len750_dim1_sp_op_CI_CI
	.p2align	8
	.type	bluestein_single_back_len750_dim1_sp_op_CI_CI,@function
bluestein_single_back_len750_dim1_sp_op_CI_CI: ; @bluestein_single_back_len750_dim1_sp_op_CI_CI
; %bb.0:
	s_load_dwordx4 s[0:3], s[4:5], 0x28
	v_mul_u32_u24_e32 v1, 0x107, v0
	v_add_u32_sdwa v42, s6, v1 dst_sel:DWORD dst_unused:UNUSED_PAD src0_sel:DWORD src1_sel:WORD_1
	v_mov_b32_e32 v43, 0
	s_waitcnt lgkmcnt(0)
	v_cmp_gt_u64_e32 vcc, s[0:1], v[42:43]
	s_and_saveexec_b64 s[0:1], vcc
	s_cbranch_execz .LBB0_31
; %bb.1:
	s_load_dwordx2 s[10:11], s[4:5], 0x0
	s_load_dwordx2 s[8:9], s[4:5], 0x38
	s_movk_i32 s0, 0xfa
	v_mul_lo_u16_sdwa v1, v1, s0 dst_sel:DWORD dst_unused:UNUSED_PAD src0_sel:WORD_1 src1_sel:DWORD
	v_sub_u16_e32 v44, v0, v1
	s_movk_i32 s0, 0x4b
	v_cmp_gt_u16_e64 s[0:1], s0, v44
	v_lshlrev_b32_e32 v43, 3, v44
	s_and_saveexec_b64 s[6:7], s[0:1]
	s_cbranch_execz .LBB0_3
; %bb.2:
	s_load_dwordx2 s[12:13], s[4:5], 0x18
	s_waitcnt lgkmcnt(0)
	s_load_dwordx4 s[12:15], s[12:13], 0x0
	s_waitcnt lgkmcnt(0)
	v_mad_u64_u32 v[0:1], s[16:17], s14, v42, 0
	v_mad_u64_u32 v[2:3], s[16:17], s12, v44, 0
	;; [unrolled: 1-line block ×4, first 2 shown]
	v_mov_b32_e32 v1, v4
	v_lshlrev_b64 v[0:1], 3, v[0:1]
	v_mov_b32_e32 v3, v5
	v_mov_b32_e32 v6, s3
	v_lshlrev_b64 v[2:3], 3, v[2:3]
	v_add_co_u32_e32 v0, vcc, s2, v0
	v_addc_co_u32_e32 v1, vcc, v6, v1, vcc
	v_add_co_u32_e32 v0, vcc, v0, v2
	s_mul_i32 s2, s13, 0x258
	s_mul_hi_u32 s3, s12, 0x258
	v_addc_co_u32_e32 v1, vcc, v1, v3, vcc
	s_add_i32 s2, s3, s2
	s_mul_i32 s3, s12, 0x258
	v_mov_b32_e32 v3, s2
	v_add_co_u32_e32 v2, vcc, s3, v0
	v_addc_co_u32_e32 v3, vcc, v1, v3, vcc
	v_mov_b32_e32 v5, s2
	v_add_co_u32_e32 v4, vcc, s3, v2
	v_addc_co_u32_e32 v5, vcc, v3, v5, vcc
	;; [unrolled: 3-line block ×3, first 2 shown]
	global_load_dwordx2 v[8:9], v43, s[10:11]
	global_load_dwordx2 v[10:11], v43, s[10:11] offset:600
	global_load_dwordx2 v[12:13], v43, s[10:11] offset:1200
	;; [unrolled: 1-line block ×3, first 2 shown]
	global_load_dwordx2 v[16:17], v[0:1], off
	global_load_dwordx2 v[18:19], v[2:3], off
	;; [unrolled: 1-line block ×4, first 2 shown]
	v_mov_b32_e32 v1, s2
	v_add_co_u32_e32 v0, vcc, s3, v6
	v_addc_co_u32_e32 v1, vcc, v7, v1, vcc
	v_mov_b32_e32 v4, s2
	global_load_dwordx2 v[2:3], v[0:1], off
	v_add_co_u32_e32 v0, vcc, s3, v0
	v_addc_co_u32_e32 v1, vcc, v1, v4, vcc
	v_mov_b32_e32 v5, s2
	v_add_co_u32_e32 v4, vcc, s3, v0
	v_addc_co_u32_e32 v5, vcc, v1, v5, vcc
	global_load_dwordx2 v[6:7], v[0:1], off
	global_load_dwordx2 v[24:25], v43, s[10:11] offset:2400
	global_load_dwordx2 v[26:27], v43, s[10:11] offset:3000
	;; [unrolled: 1-line block ×3, first 2 shown]
	global_load_dwordx2 v[30:31], v[4:5], off
	v_mov_b32_e32 v0, s11
	v_add_co_u32_e32 v32, vcc, s10, v43
	v_addc_co_u32_e32 v33, vcc, 0, v0, vcc
	v_mov_b32_e32 v1, s2
	v_add_co_u32_e32 v0, vcc, s3, v4
	v_addc_co_u32_e32 v1, vcc, v5, v1, vcc
	s_movk_i32 s12, 0x1000
	v_add_co_u32_e32 v32, vcc, s12, v32
	v_addc_co_u32_e32 v33, vcc, 0, v33, vcc
	global_load_dwordx2 v[4:5], v[0:1], off
	global_load_dwordx2 v[34:35], v[32:33], off offset:104
	global_load_dwordx2 v[38:39], v[32:33], off offset:704
	v_mov_b32_e32 v36, s2
	v_add_co_u32_e32 v0, vcc, s3, v0
	v_addc_co_u32_e32 v1, vcc, v1, v36, vcc
	global_load_dwordx2 v[36:37], v[0:1], off
	v_mov_b32_e32 v40, s2
	v_add_co_u32_e32 v0, vcc, s3, v0
	v_addc_co_u32_e32 v1, vcc, v1, v40, vcc
	global_load_dwordx2 v[40:41], v[32:33], off offset:1304
	global_load_dwordx2 v[45:46], v[0:1], off
	s_waitcnt vmcnt(15)
	v_mul_f32_e32 v0, v16, v9
	v_fma_f32 v1, v17, v8, -v0
	v_mul_f32_e32 v0, v17, v9
	v_fmac_f32_e32 v0, v16, v8
	s_waitcnt vmcnt(14)
	v_mul_f32_e32 v8, v18, v11
	v_fma_f32 v9, v19, v10, -v8
	v_mul_f32_e32 v8, v19, v11
	v_fmac_f32_e32 v8, v18, v10
	ds_write2_b64 v43, v[0:1], v[8:9] offset1:75
	s_waitcnt vmcnt(13)
	v_mul_f32_e32 v0, v20, v13
	s_waitcnt vmcnt(12)
	v_mul_f32_e32 v8, v22, v15
	v_fma_f32 v1, v21, v12, -v0
	v_mul_f32_e32 v0, v21, v13
	v_fma_f32 v9, v23, v14, -v8
	v_mul_f32_e32 v8, v23, v15
	v_fmac_f32_e32 v0, v20, v12
	v_fmac_f32_e32 v8, v22, v14
	ds_write2_b64 v43, v[0:1], v[8:9] offset0:150 offset1:225
	s_waitcnt vmcnt(9)
	v_mul_f32_e32 v0, v2, v25
	v_fma_f32 v1, v3, v24, -v0
	v_mul_f32_e32 v0, v3, v25
	v_fmac_f32_e32 v0, v2, v24
	s_waitcnt vmcnt(8)
	v_mul_f32_e32 v2, v6, v27
	v_fma_f32 v3, v7, v26, -v2
	v_mul_f32_e32 v2, v7, v27
	v_add_u32_e32 v8, 0x800, v43
	v_fmac_f32_e32 v2, v6, v26
	ds_write2_b64 v8, v[0:1], v[2:3] offset0:44 offset1:119
	s_waitcnt vmcnt(6)
	v_mul_f32_e32 v0, v30, v29
	v_fma_f32 v7, v31, v28, -v0
	v_mul_f32_e32 v6, v31, v29
	v_fmac_f32_e32 v6, v30, v28
	v_add_u32_e32 v2, 0xc00, v43
	s_waitcnt vmcnt(4)
	v_mul_f32_e32 v0, v4, v35
	v_fma_f32 v1, v5, v34, -v0
	v_mul_f32_e32 v0, v5, v35
	v_fmac_f32_e32 v0, v4, v34
	ds_write2_b64 v2, v[6:7], v[0:1] offset0:66 offset1:141
	v_add_u32_e32 v4, 0x1000, v43
	s_waitcnt vmcnt(2)
	v_mul_f32_e32 v0, v37, v39
	v_mul_f32_e32 v1, v36, v39
	v_fmac_f32_e32 v0, v36, v38
	v_fma_f32 v1, v37, v38, -v1
	s_waitcnt vmcnt(0)
	v_mul_f32_e32 v2, v46, v41
	v_mul_f32_e32 v3, v45, v41
	v_fmac_f32_e32 v2, v45, v40
	v_fma_f32 v3, v46, v40, -v3
	ds_write2_b64 v4, v[0:1], v[2:3] offset0:88 offset1:163
.LBB0_3:
	s_or_b64 exec, exec, s[6:7]
	s_waitcnt lgkmcnt(0)
	s_barrier
	s_waitcnt lgkmcnt(0)
                                        ; implicit-def: $vgpr0
                                        ; implicit-def: $vgpr4
                                        ; implicit-def: $vgpr8
                                        ; implicit-def: $vgpr12
                                        ; implicit-def: $vgpr16
	s_and_saveexec_b64 s[2:3], s[0:1]
	s_cbranch_execz .LBB0_5
; %bb.4:
	v_add_u32_e32 v8, 0x800, v43
	v_add_u32_e32 v12, 0xc00, v43
	;; [unrolled: 1-line block ×3, first 2 shown]
	ds_read2_b64 v[0:3], v43 offset1:75
	ds_read2_b64 v[4:7], v43 offset0:150 offset1:225
	ds_read2_b64 v[8:11], v8 offset0:44 offset1:119
	;; [unrolled: 1-line block ×4, first 2 shown]
.LBB0_5:
	s_or_b64 exec, exec, s[2:3]
	s_waitcnt lgkmcnt(1)
	v_add_f32_e32 v20, v8, v12
	s_waitcnt lgkmcnt(0)
	v_add_f32_e32 v22, v4, v16
	v_fma_f32 v21, -0.5, v20, v0
	v_add_f32_e32 v20, v0, v4
	v_fmac_f32_e32 v0, -0.5, v22
	v_sub_f32_e32 v22, v8, v4
	v_sub_f32_e32 v23, v12, v16
	v_add_f32_e32 v22, v22, v23
	v_add_f32_e32 v23, v9, v13
	v_add_f32_e32 v24, v5, v17
	v_fma_f32 v28, -0.5, v23, v1
	v_add_f32_e32 v23, v1, v5
	v_fmac_f32_e32 v1, -0.5, v24
	v_sub_f32_e32 v24, v9, v5
	v_sub_f32_e32 v25, v13, v17
	v_add_f32_e32 v25, v24, v25
	v_add_f32_e32 v24, v10, v14
	;; [unrolled: 8-line block ×3, first 2 shown]
	v_fma_f32 v31, -0.5, v26, v3
	v_add_f32_e32 v26, v7, v19
	v_sub_f32_e32 v40, v11, v15
	v_add_f32_e32 v32, v3, v7
	v_fmac_f32_e32 v3, -0.5, v26
	v_mov_b32_e32 v41, v2
	v_fmac_f32_e32 v2, 0x3f737871, v40
	v_sub_f32_e32 v45, v7, v19
	v_sub_f32_e32 v46, v10, v14
	;; [unrolled: 1-line block ×4, first 2 shown]
	v_fmac_f32_e32 v2, 0xbf167918, v45
	v_mov_b32_e32 v47, v3
	v_fmac_f32_e32 v3, 0xbf737871, v46
	v_sub_f32_e32 v48, v6, v18
	v_add_f32_e32 v33, v26, v27
	v_sub_f32_e32 v37, v8, v12
	v_fmac_f32_e32 v2, 0x3e9e377a, v30
	v_fmac_f32_e32 v3, 0x3f167918, v48
	s_mov_b32 s2, 0x3f737871
	v_mov_b32_e32 v38, v1
	v_fmac_f32_e32 v1, 0xbf737871, v37
	v_sub_f32_e32 v39, v4, v16
	v_fmac_f32_e32 v3, 0x3e9e377a, v33
	v_mul_f32_e32 v26, 0x3e9e377a, v2
	s_mov_b32 s3, 0xbf737871
	v_fmac_f32_e32 v1, 0x3f167918, v39
	v_fma_f32 v49, v3, s2, -v26
	v_mul_f32_e32 v3, 0x3e9e377a, v3
	v_fmac_f32_e32 v1, 0x3e9e377a, v25
	v_fma_f32 v2, v2, s3, -v3
	v_add_f32_e32 v27, v1, v2
	v_sub_f32_e32 v1, v1, v2
	v_sub_f32_e32 v2, v4, v8
	v_sub_f32_e32 v4, v6, v10
	v_add_f32_e32 v6, v20, v8
	v_add_f32_e32 v8, v24, v10
	v_sub_f32_e32 v10, v16, v12
	v_sub_f32_e32 v36, v5, v17
	v_add_f32_e32 v2, v2, v10
	v_mov_b32_e32 v10, v21
	v_sub_f32_e32 v34, v9, v13
	v_fmac_f32_e32 v10, 0x3f737871, v36
	v_fmac_f32_e32 v21, 0xbf737871, v36
	v_add_f32_e32 v6, v6, v12
	v_sub_f32_e32 v12, v18, v14
	v_fmac_f32_e32 v10, 0x3f167918, v34
	v_fmac_f32_e32 v21, 0xbf167918, v34
	v_fmac_f32_e32 v10, 0x3e9e377a, v2
	v_fmac_f32_e32 v21, 0x3e9e377a, v2
	v_add_f32_e32 v2, v4, v12
	v_mov_b32_e32 v4, v29
	v_sub_f32_e32 v3, v5, v9
	v_sub_f32_e32 v5, v7, v11
	v_add_f32_e32 v7, v23, v9
	v_fmac_f32_e32 v4, 0x3f737871, v45
	v_fmac_f32_e32 v29, 0xbf737871, v45
	v_add_f32_e32 v9, v32, v11
	v_add_f32_e32 v7, v7, v13
	v_sub_f32_e32 v11, v17, v13
	v_sub_f32_e32 v13, v19, v15
	v_fmac_f32_e32 v4, 0x3f167918, v40
	v_fmac_f32_e32 v29, 0xbf167918, v40
	;; [unrolled: 1-line block ×4, first 2 shown]
	v_add_f32_e32 v2, v5, v13
	v_mov_b32_e32 v5, v31
	v_fmac_f32_e32 v5, 0xbf737871, v48
	v_fmac_f32_e32 v31, 0x3f737871, v48
	;; [unrolled: 1-line block ×6, first 2 shown]
	v_mul_f32_e32 v2, 0x3f4f1bbd, v4
	v_mul_f32_e32 v4, 0xbf167918, v4
	v_mov_b32_e32 v35, v0
	v_fmac_f32_e32 v2, 0x3f167918, v5
	v_fmac_f32_e32 v4, 0x3f4f1bbd, v5
	v_mov_b32_e32 v5, v28
	v_fmac_f32_e32 v0, 0x3f737871, v34
	v_fmac_f32_e32 v35, 0xbf737871, v34
	v_fmac_f32_e32 v41, 0xbf737871, v40
	v_fmac_f32_e32 v47, 0x3f737871, v46
	v_fmac_f32_e32 v5, 0xbf737871, v39
	v_fmac_f32_e32 v0, 0xbf167918, v36
	v_fmac_f32_e32 v35, 0x3f167918, v36
	v_fmac_f32_e32 v41, 0x3f167918, v45
	v_fmac_f32_e32 v47, 0xbf167918, v48
	v_add_f32_e32 v3, v3, v11
	v_fmac_f32_e32 v5, 0xbf167918, v37
	v_fmac_f32_e32 v28, 0x3f737871, v39
	s_load_dwordx2 s[12:13], s[4:5], 0x8
	v_fmac_f32_e32 v0, 0x3e9e377a, v22
	v_add_f32_e32 v6, v6, v16
	v_fmac_f32_e32 v35, 0x3e9e377a, v22
	v_fmac_f32_e32 v41, 0x3e9e377a, v30
	;; [unrolled: 1-line block ×3, first 2 shown]
	s_mov_b32 s2, 0x3f167918
	v_sub_f32_e32 v16, v10, v2
	v_add_f32_e32 v22, v10, v2
	v_mul_f32_e32 v2, 0x3f4f1bbd, v29
	v_fmac_f32_e32 v5, 0x3e9e377a, v3
	v_fmac_f32_e32 v38, 0x3f737871, v37
	;; [unrolled: 1-line block ×3, first 2 shown]
	v_add_f32_e32 v8, v8, v14
	v_add_f32_e32 v9, v9, v15
	;; [unrolled: 1-line block ×3, first 2 shown]
	v_mul_f32_e32 v12, 0x3f737871, v47
	v_fma_f32 v2, v31, s2, -v2
	v_add_f32_e32 v23, v5, v4
	v_sub_f32_e32 v17, v5, v4
	v_fmac_f32_e32 v38, 0xbf167918, v39
	v_mul_f32_e32 v4, 0xbf737871, v41
	v_fmac_f32_e32 v28, 0x3e9e377a, v3
	s_mov_b32 s2, 0xbf167918
	v_mul_f32_e32 v3, 0x3f4f1bbd, v31
	v_add_f32_e32 v8, v8, v18
	v_add_f32_e32 v9, v9, v19
	v_fmac_f32_e32 v12, 0x3e9e377a, v41
	v_fmac_f32_e32 v38, 0x3e9e377a, v25
	;; [unrolled: 1-line block ×3, first 2 shown]
	v_fma_f32 v3, v29, s2, -v3
	v_add_f32_e32 v26, v0, v49
	v_sub_f32_e32 v0, v0, v49
	v_add_f32_e32 v24, v35, v12
	v_sub_f32_e32 v18, v35, v12
	;; [unrolled: 2-line block ×7, first 2 shown]
	v_mul_lo_u16_e32 v46, 10, v44
	s_waitcnt lgkmcnt(0)
	s_barrier
	s_and_saveexec_b64 s[2:3], s[0:1]
	s_cbranch_execz .LBB0_7
; %bb.6:
	v_lshlrev_b32_e32 v4, 3, v46
	ds_write_b128 v4, v[20:23]
	ds_write_b128 v4, v[24:27] offset:16
	ds_write_b128 v4, v[12:15] offset:32
	;; [unrolled: 1-line block ×4, first 2 shown]
.LBB0_7:
	s_or_b64 exec, exec, s[2:3]
	s_load_dwordx2 s[4:5], s[4:5], 0x20
	s_movk_i32 s2, 0x96
	v_cmp_gt_u16_e64 s[2:3], s2, v44
	s_waitcnt lgkmcnt(0)
	s_barrier
	s_and_saveexec_b64 s[6:7], s[2:3]
	s_cbranch_execz .LBB0_9
; %bb.8:
	v_add_u32_e32 v4, 0x800, v43
	ds_read2_b64 v[20:23], v43 offset1:150
	ds_read2_b64 v[24:27], v4 offset0:44 offset1:194
	ds_read_b64 v[12:13], v43 offset:4800
.LBB0_9:
	s_or_b64 exec, exec, s[6:7]
	s_movk_i32 s6, 0xcd
	v_mul_lo_u16_sdwa v4, v44, s6 dst_sel:DWORD dst_unused:UNUSED_PAD src0_sel:BYTE_0 src1_sel:DWORD
	v_lshrrev_b16_e32 v47, 11, v4
	v_mul_lo_u16_e32 v4, 10, v47
	v_sub_u16_e32 v4, v44, v4
	v_and_b32_e32 v45, 0xff, v4
	v_lshlrev_b32_e32 v28, 5, v45
	global_load_dwordx4 v[8:11], v28, s[12:13]
	global_load_dwordx4 v[4:7], v28, s[12:13] offset:16
	v_mul_u32_u24_e32 v47, 50, v47
	s_waitcnt vmcnt(0) lgkmcnt(0)
	s_barrier
	v_mul_f32_e32 v32, v23, v9
	v_mul_f32_e32 v28, v22, v9
	v_mul_f32_e32 v33, v25, v11
	v_mul_f32_e32 v29, v24, v11
	v_mul_f32_e32 v34, v27, v5
	v_mul_f32_e32 v30, v26, v5
	v_mul_f32_e32 v35, v13, v7
	v_mul_f32_e32 v31, v12, v7
	v_fma_f32 v22, v22, v8, -v32
	v_fmac_f32_e32 v28, v23, v8
	v_fma_f32 v23, v24, v10, -v33
	v_fmac_f32_e32 v29, v25, v10
	;; [unrolled: 2-line block ×4, first 2 shown]
	v_add_f32_e32 v12, v23, v24
	v_sub_f32_e32 v13, v22, v23
	v_sub_f32_e32 v27, v25, v24
	v_add_f32_e32 v36, v22, v25
	v_sub_f32_e32 v37, v23, v22
	v_sub_f32_e32 v38, v24, v25
	v_add_f32_e32 v39, v29, v30
	v_add_f32_e32 v50, v28, v31
	v_fma_f32 v26, -0.5, v12, v20
	v_add_f32_e32 v49, v13, v27
	v_fma_f32 v27, -0.5, v36, v20
	;; [unrolled: 2-line block ×3, first 2 shown]
	v_fma_f32 v37, -0.5, v50, v21
	v_sub_f32_e32 v32, v28, v31
	v_sub_f32_e32 v33, v29, v30
	;; [unrolled: 1-line block ×4, first 2 shown]
	v_mov_b32_e32 v12, v26
	v_mov_b32_e32 v38, v27
	;; [unrolled: 1-line block ×4, first 2 shown]
	v_sub_f32_e32 v40, v28, v29
	v_sub_f32_e32 v41, v31, v30
	;; [unrolled: 1-line block ×4, first 2 shown]
	v_fmac_f32_e32 v12, 0xbf737871, v32
	v_fmac_f32_e32 v38, 0x3f737871, v33
	v_fmac_f32_e32 v13, 0x3f737871, v34
	v_fmac_f32_e32 v39, 0xbf737871, v35
	v_add_f32_e32 v41, v40, v41
	v_add_f32_e32 v40, v51, v52
	v_fmac_f32_e32 v12, 0xbf167918, v33
	v_fmac_f32_e32 v38, 0xbf167918, v32
	;; [unrolled: 1-line block ×8, first 2 shown]
	s_and_saveexec_b64 s[6:7], s[2:3]
	s_cbranch_execz .LBB0_11
; %bb.10:
	v_mul_f32_e32 v50, 0x3f737871, v32
	v_mul_f32_e32 v52, 0x3f167918, v32
	v_mul_f32_e32 v32, 0x3f737871, v35
	v_mul_f32_e32 v53, 0x3f737871, v34
	v_mul_f32_e32 v34, 0x3f167918, v34
	v_add_f32_e32 v32, v32, v37
	v_add_f32_e32 v21, v21, v28
	;; [unrolled: 1-line block ×3, first 2 shown]
	v_mul_f32_e32 v51, 0x3f167918, v33
	v_mul_f32_e32 v33, 0x3f737871, v33
	;; [unrolled: 1-line block ×3, first 2 shown]
	v_sub_f32_e32 v32, v32, v34
	v_sub_f32_e32 v34, v36, v53
	v_add_f32_e32 v21, v21, v29
	v_add_f32_e32 v26, v26, v50
	;; [unrolled: 1-line block ×3, first 2 shown]
	v_mul_f32_e32 v49, 0x3e9e377a, v49
	v_mul_f32_e32 v41, 0x3e9e377a, v41
	v_sub_f32_e32 v34, v34, v54
	v_add_f32_e32 v21, v21, v30
	v_sub_f32_e32 v27, v27, v33
	v_add_f32_e32 v26, v51, v26
	v_add_f32_e32 v20, v20, v24
	v_mul_f32_e32 v48, 0x3e9e377a, v48
	v_mul_f32_e32 v35, 0x3e9e377a, v40
	v_add_f32_e32 v34, v41, v34
	v_add_f32_e32 v21, v21, v31
	;; [unrolled: 1-line block ×5, first 2 shown]
	v_add_lshl_u32 v22, v47, v45, 3
	v_add_f32_e32 v32, v35, v32
	v_add_f32_e32 v31, v48, v27
	ds_write2_b64 v22, v[20:21], v[33:34] offset1:10
	ds_write2_b64 v22, v[31:32], v[38:39] offset0:20 offset1:30
	ds_write_b64 v22, v[12:13] offset:320
.LBB0_11:
	s_or_b64 exec, exec, s[6:7]
	v_mov_b32_e32 v20, 41
	v_mul_lo_u16_sdwa v20, v44, v20 dst_sel:DWORD dst_unused:UNUSED_PAD src0_sel:BYTE_0 src1_sel:DWORD
	v_lshrrev_b16_e32 v30, 11, v20
	v_mul_lo_u16_e32 v20, 50, v30
	v_sub_u16_e32 v20, v44, v20
	v_and_b32_e32 v31, 0xff, v20
	v_lshlrev_b32_e32 v20, 4, v31
	s_load_dwordx4 s[4:7], s[4:5], 0x0
	s_waitcnt lgkmcnt(0)
	s_barrier
	global_load_dwordx4 v[20:23], v20, s[12:13] offset:320
	ds_read2_b64 v[24:27], v43 offset1:250
	ds_read_b64 v[28:29], v43 offset:4000
	v_mul_u32_u24_e32 v30, 0x96, v30
	v_add_lshl_u32 v48, v30, v31, 3
	s_waitcnt vmcnt(0) lgkmcnt(0)
	s_barrier
	v_mul_f32_e32 v30, v27, v21
	v_mul_f32_e32 v31, v26, v21
	;; [unrolled: 1-line block ×4, first 2 shown]
	v_fma_f32 v26, v26, v20, -v30
	v_fmac_f32_e32 v31, v27, v20
	v_fma_f32 v27, v28, v22, -v32
	v_fmac_f32_e32 v33, v29, v22
	v_add_f32_e32 v29, v26, v27
	v_sub_f32_e32 v30, v31, v33
	v_add_f32_e32 v34, v25, v31
	v_add_f32_e32 v31, v31, v33
	v_fma_f32 v36, -0.5, v29, v24
	v_fma_f32 v37, -0.5, v31, v25
	v_add_f32_e32 v28, v24, v26
	v_sub_f32_e32 v26, v26, v27
	v_add_f32_e32 v33, v34, v33
	v_mov_b32_e32 v34, v36
	v_mov_b32_e32 v35, v37
	v_add_f32_e32 v32, v28, v27
	v_fmac_f32_e32 v36, 0xbf5db3d7, v30
	v_fmac_f32_e32 v37, 0x3f5db3d7, v26
	;; [unrolled: 1-line block ×4, first 2 shown]
	ds_write_b64 v48, v[36:37] offset:800
	ds_write2_b64 v48, v[32:33], v[34:35] offset1:50
	s_waitcnt lgkmcnt(0)
	s_barrier
	s_and_saveexec_b64 s[14:15], s[2:3]
	s_cbranch_execz .LBB0_13
; %bb.12:
	v_add_u32_e32 v12, 0x800, v43
	ds_read2_b64 v[32:35], v43 offset1:150
	ds_read2_b64 v[36:39], v12 offset0:44 offset1:194
	ds_read_b64 v[12:13], v43 offset:4800
.LBB0_13:
	s_or_b64 exec, exec, s[14:15]
	v_lshlrev_b32_e32 v24, 2, v44
	v_add_co_u32_e32 v26, vcc, 0xfffffda8, v24
	v_addc_co_u32_e64 v25, s[14:15], 0, -1, vcc
	v_cndmask_b32_e64 v25, v25, 0, s[2:3]
	v_cndmask_b32_e64 v24, v26, v24, s[2:3]
	v_lshlrev_b64 v[24:25], 3, v[24:25]
	v_mov_b32_e32 v26, s13
	v_add_co_u32_e32 v40, vcc, s12, v24
	v_addc_co_u32_e32 v41, vcc, v26, v25, vcc
	global_load_dwordx4 v[28:31], v[40:41], off offset:1120
	global_load_dwordx4 v[24:27], v[40:41], off offset:1136
	s_waitcnt vmcnt(1) lgkmcnt(2)
	v_mul_f32_e32 v40, v35, v29
	v_mul_f32_e32 v41, v34, v29
	s_waitcnt lgkmcnt(1)
	v_mul_f32_e32 v49, v37, v31
	v_mul_f32_e32 v50, v36, v31
	s_waitcnt vmcnt(0)
	v_mul_f32_e32 v51, v39, v25
	v_mul_f32_e32 v52, v38, v25
	s_waitcnt lgkmcnt(0)
	v_mul_f32_e32 v53, v13, v27
	v_mul_f32_e32 v54, v12, v27
	v_fma_f32 v34, v34, v28, -v40
	v_fmac_f32_e32 v41, v35, v28
	v_fma_f32 v35, v36, v30, -v49
	v_fmac_f32_e32 v50, v37, v30
	v_fma_f32 v36, v38, v24, -v51
	v_fmac_f32_e32 v52, v39, v24
	v_fma_f32 v40, v12, v26, -v53
	v_fmac_f32_e32 v54, v13, v26
	v_add_f32_e32 v12, v32, v34
	v_add_f32_e32 v13, v35, v36
	v_sub_f32_e32 v37, v34, v35
	v_sub_f32_e32 v38, v40, v36
	v_add_f32_e32 v39, v34, v40
	v_add_f32_e32 v56, v33, v41
	;; [unrolled: 1-line block ×4, first 2 shown]
	v_sub_f32_e32 v53, v35, v34
	v_sub_f32_e32 v58, v34, v40
	;; [unrolled: 1-line block ×5, first 2 shown]
	v_add_f32_e32 v35, v12, v35
	v_fma_f32 v12, -0.5, v13, v32
	v_add_f32_e32 v63, v37, v38
	v_fmac_f32_e32 v32, -0.5, v39
	v_add_f32_e32 v37, v56, v50
	v_fma_f32 v13, -0.5, v57, v33
	v_fmac_f32_e32 v33, -0.5, v61
	v_sub_f32_e32 v49, v41, v54
	v_sub_f32_e32 v51, v50, v52
	;; [unrolled: 1-line block ×4, first 2 shown]
	v_add_f32_e32 v50, v34, v60
	v_add_f32_e32 v34, v35, v36
	v_mov_b32_e32 v36, v12
	v_mov_b32_e32 v38, v32
	v_add_f32_e32 v35, v37, v52
	v_mov_b32_e32 v37, v13
	v_mov_b32_e32 v39, v33
	v_sub_f32_e32 v62, v52, v54
	v_fmac_f32_e32 v12, 0xbf737871, v49
	v_fmac_f32_e32 v32, 0x3f737871, v51
	v_fmac_f32_e32 v13, 0x3f737871, v58
	v_fmac_f32_e32 v33, 0xbf737871, v59
	v_fmac_f32_e32 v36, 0x3f737871, v49
	v_fmac_f32_e32 v38, 0xbf737871, v51
	v_fmac_f32_e32 v37, 0xbf737871, v58
	v_fmac_f32_e32 v39, 0x3f737871, v59
	v_add_f32_e32 v53, v53, v55
	v_add_f32_e32 v41, v41, v62
	v_fmac_f32_e32 v12, 0xbf167918, v51
	v_fmac_f32_e32 v32, 0xbf167918, v49
	;; [unrolled: 1-line block ×8, first 2 shown]
	v_add_f32_e32 v34, v34, v40
	v_add_f32_e32 v35, v35, v54
	v_fmac_f32_e32 v12, 0x3e9e377a, v63
	v_fmac_f32_e32 v32, 0x3e9e377a, v53
	;; [unrolled: 1-line block ×8, first 2 shown]
	s_and_saveexec_b64 s[12:13], s[2:3]
	s_cbranch_execz .LBB0_15
; %bb.14:
	v_add_u32_e32 v40, 0x800, v43
	ds_write2_b64 v43, v[34:35], v[36:37] offset1:150
	ds_write2_b64 v40, v[38:39], v[32:33] offset0:44 offset1:194
	ds_write_b64 v43, v[12:13] offset:4800
.LBB0_15:
	s_or_b64 exec, exec, s[12:13]
	s_waitcnt lgkmcnt(0)
	s_barrier
	s_and_saveexec_b64 s[12:13], s[0:1]
	s_cbranch_execz .LBB0_17
; %bb.16:
	v_add_co_u32_e32 v57, vcc, s10, v43
	v_mov_b32_e32 v40, s11
	v_addc_co_u32_e32 v58, vcc, 0, v40, vcc
	v_add_co_u32_e32 v53, vcc, 0x1770, v57
	v_addc_co_u32_e32 v54, vcc, 0, v58, vcc
	v_add_co_u32_e32 v49, vcc, 0x1000, v57
	v_addc_co_u32_e32 v50, vcc, 0, v58, vcc
	global_load_dwordx2 v[49:50], v[49:50], off offset:1904
	ds_read_b64 v[40:41], v43
	v_add_u32_e32 v59, 0x400, v43
	s_movk_i32 s14, 0x2000
	s_waitcnt vmcnt(0) lgkmcnt(0)
	v_mul_f32_e32 v51, v41, v50
	v_mul_f32_e32 v52, v40, v50
	v_fma_f32 v51, v40, v49, -v51
	v_fmac_f32_e32 v52, v41, v49
	global_load_dwordx2 v[40:41], v[53:54], off offset:600
	ds_write_b64 v43, v[51:52]
	ds_read2_b64 v[49:52], v43 offset0:75 offset1:150
	s_waitcnt vmcnt(0) lgkmcnt(0)
	v_mul_f32_e32 v55, v50, v41
	v_mul_f32_e32 v56, v49, v41
	v_fma_f32 v55, v49, v40, -v55
	v_fmac_f32_e32 v56, v50, v40
	global_load_dwordx2 v[40:41], v[53:54], off offset:1200
	s_waitcnt vmcnt(0)
	v_mul_f32_e32 v49, v52, v41
	v_mul_f32_e32 v50, v51, v41
	v_fma_f32 v49, v51, v40, -v49
	v_fmac_f32_e32 v50, v52, v40
	global_load_dwordx2 v[40:41], v[53:54], off offset:1800
	ds_write2_b64 v43, v[55:56], v[49:50] offset0:75 offset1:150
	ds_read2_b64 v[49:52], v59 offset0:97 offset1:172
	s_waitcnt vmcnt(0) lgkmcnt(0)
	v_mul_f32_e32 v55, v50, v41
	v_mul_f32_e32 v56, v49, v41
	v_fma_f32 v55, v49, v40, -v55
	v_fmac_f32_e32 v56, v50, v40
	global_load_dwordx2 v[40:41], v[53:54], off offset:2400
	s_waitcnt vmcnt(0)
	v_mul_f32_e32 v49, v52, v41
	v_mul_f32_e32 v50, v51, v41
	v_fma_f32 v49, v51, v40, -v49
	v_fmac_f32_e32 v50, v52, v40
	global_load_dwordx2 v[40:41], v[53:54], off offset:3000
	ds_write2_b64 v59, v[55:56], v[49:50] offset0:97 offset1:172
	v_add_u32_e32 v59, 0x800, v43
	ds_read2_b64 v[49:52], v59 offset0:119 offset1:194
	s_waitcnt vmcnt(0) lgkmcnt(0)
	v_mul_f32_e32 v55, v50, v41
	v_mul_f32_e32 v56, v49, v41
	v_fma_f32 v55, v49, v40, -v55
	v_fmac_f32_e32 v56, v50, v40
	global_load_dwordx2 v[40:41], v[53:54], off offset:3600
	s_waitcnt vmcnt(0)
	v_mul_f32_e32 v49, v52, v41
	v_mul_f32_e32 v50, v51, v41
	v_fma_f32 v49, v51, v40, -v49
	v_fmac_f32_e32 v50, v52, v40
	v_add_co_u32_e32 v40, vcc, s14, v57
	v_addc_co_u32_e32 v41, vcc, 0, v58, vcc
	global_load_dwordx2 v[53:54], v[40:41], off offset:2008
	ds_write2_b64 v59, v[55:56], v[49:50] offset0:119 offset1:194
	v_add_u32_e32 v59, 0x1000, v43
	ds_read2_b64 v[49:52], v59 offset0:13 offset1:88
	s_waitcnt vmcnt(0) lgkmcnt(0)
	v_mul_f32_e32 v55, v50, v54
	v_mul_f32_e32 v56, v49, v54
	v_fma_f32 v55, v49, v53, -v55
	v_fmac_f32_e32 v56, v50, v53
	global_load_dwordx2 v[49:50], v[40:41], off offset:2608
	s_waitcnt vmcnt(0)
	v_mul_f32_e32 v53, v52, v50
	global_load_dwordx2 v[40:41], v[40:41], off offset:3208
	v_mul_f32_e32 v54, v51, v50
	v_fma_f32 v53, v51, v49, -v53
	v_fmac_f32_e32 v54, v52, v49
	ds_read_b64 v[49:50], v43 offset:5400
	ds_write2_b64 v59, v[55:56], v[53:54] offset0:13 offset1:88
	s_waitcnt vmcnt(0) lgkmcnt(1)
	v_mul_f32_e32 v51, v50, v41
	v_mul_f32_e32 v52, v49, v41
	v_fma_f32 v51, v49, v40, -v51
	v_fmac_f32_e32 v52, v50, v40
	ds_write_b64 v43, v[51:52] offset:5400
.LBB0_17:
	s_or_b64 exec, exec, s[12:13]
	s_waitcnt lgkmcnt(0)
	s_barrier
	s_and_saveexec_b64 s[12:13], s[0:1]
	s_cbranch_execz .LBB0_19
; %bb.18:
	v_add_u32_e32 v0, 0x800, v43
	ds_read2_b64 v[34:37], v43 offset1:75
	ds_read2_b64 v[38:41], v43 offset0:150 offset1:225
	ds_read2_b64 v[12:15], v0 offset0:44 offset1:119
	v_add_u32_e32 v0, 0xc00, v43
	ds_read2_b64 v[16:19], v0 offset0:66 offset1:141
	v_add_u32_e32 v0, 0x1000, v43
	ds_read2_b64 v[0:3], v0 offset0:88 offset1:163
	s_waitcnt lgkmcnt(3)
	v_mov_b32_e32 v32, v40
	v_mov_b32_e32 v33, v41
.LBB0_19:
	s_or_b64 exec, exec, s[12:13]
	s_waitcnt lgkmcnt(1)
	v_add_f32_e32 v41, v12, v16
	v_fma_f32 v49, -0.5, v41, v34
	s_waitcnt lgkmcnt(0)
	v_sub_f32_e32 v51, v39, v1
	v_mov_b32_e32 v41, v49
	v_fmac_f32_e32 v41, 0xbf737871, v51
	v_sub_f32_e32 v52, v13, v17
	v_sub_f32_e32 v50, v38, v12
	;; [unrolled: 1-line block ×3, first 2 shown]
	v_fmac_f32_e32 v49, 0x3f737871, v51
	v_fmac_f32_e32 v41, 0xbf167918, v52
	v_add_f32_e32 v50, v50, v53
	v_fmac_f32_e32 v49, 0x3f167918, v52
	v_fmac_f32_e32 v41, 0x3e9e377a, v50
	v_fmac_f32_e32 v49, 0x3e9e377a, v50
	v_add_f32_e32 v50, v38, v0
	v_add_f32_e32 v40, v34, v38
	v_fmac_f32_e32 v34, -0.5, v50
	v_mov_b32_e32 v50, v34
	v_add_f32_e32 v40, v40, v12
	v_fmac_f32_e32 v50, 0x3f737871, v52
	v_fmac_f32_e32 v34, 0xbf737871, v52
	v_add_f32_e32 v52, v13, v17
	v_add_f32_e32 v40, v40, v16
	v_sub_f32_e32 v53, v12, v38
	v_sub_f32_e32 v54, v16, v0
	v_fma_f32 v52, -0.5, v52, v35
	v_add_f32_e32 v40, v40, v0
	v_fmac_f32_e32 v50, 0xbf167918, v51
	v_add_f32_e32 v53, v53, v54
	v_fmac_f32_e32 v34, 0x3f167918, v51
	v_sub_f32_e32 v0, v38, v0
	v_mov_b32_e32 v38, v52
	v_fmac_f32_e32 v50, 0x3e9e377a, v53
	v_fmac_f32_e32 v34, 0x3e9e377a, v53
	;; [unrolled: 1-line block ×3, first 2 shown]
	v_sub_f32_e32 v12, v12, v16
	v_sub_f32_e32 v16, v39, v13
	;; [unrolled: 1-line block ×3, first 2 shown]
	v_fmac_f32_e32 v52, 0xbf737871, v0
	v_fmac_f32_e32 v38, 0x3f167918, v12
	v_add_f32_e32 v16, v16, v53
	v_fmac_f32_e32 v52, 0xbf167918, v12
	v_fmac_f32_e32 v38, 0x3e9e377a, v16
	;; [unrolled: 1-line block ×3, first 2 shown]
	v_add_f32_e32 v16, v39, v1
	v_add_f32_e32 v51, v35, v39
	v_fmac_f32_e32 v35, -0.5, v16
	v_mov_b32_e32 v53, v35
	v_fmac_f32_e32 v53, 0xbf737871, v12
	v_fmac_f32_e32 v35, 0x3f737871, v12
	;; [unrolled: 1-line block ×4, first 2 shown]
	v_add_f32_e32 v0, v36, v32
	v_add_f32_e32 v0, v0, v14
	;; [unrolled: 1-line block ×5, first 2 shown]
	v_sub_f32_e32 v13, v13, v39
	v_add_f32_e32 v39, v0, v2
	v_add_f32_e32 v0, v14, v18
	;; [unrolled: 1-line block ×3, first 2 shown]
	v_sub_f32_e32 v1, v17, v1
	v_fma_f32 v17, -0.5, v0, v36
	v_add_f32_e32 v1, v13, v1
	v_sub_f32_e32 v0, v33, v3
	v_mov_b32_e32 v13, v17
	v_fmac_f32_e32 v53, 0x3e9e377a, v1
	v_fmac_f32_e32 v35, 0x3e9e377a, v1
	;; [unrolled: 1-line block ×3, first 2 shown]
	v_sub_f32_e32 v1, v15, v19
	v_sub_f32_e32 v12, v32, v14
	;; [unrolled: 1-line block ×3, first 2 shown]
	v_fmac_f32_e32 v17, 0x3f737871, v0
	v_fmac_f32_e32 v13, 0xbf167918, v1
	v_add_f32_e32 v12, v12, v16
	v_fmac_f32_e32 v17, 0x3f167918, v1
	v_fmac_f32_e32 v13, 0x3e9e377a, v12
	;; [unrolled: 1-line block ×3, first 2 shown]
	v_add_f32_e32 v12, v32, v2
	v_fmac_f32_e32 v36, -0.5, v12
	v_mov_b32_e32 v57, v36
	v_fmac_f32_e32 v57, 0x3f737871, v1
	v_fmac_f32_e32 v36, 0xbf737871, v1
	;; [unrolled: 1-line block ×4, first 2 shown]
	v_add_f32_e32 v0, v37, v33
	v_add_f32_e32 v0, v0, v15
	;; [unrolled: 1-line block ×5, first 2 shown]
	v_sub_f32_e32 v12, v14, v32
	v_sub_f32_e32 v16, v18, v2
	v_fma_f32 v58, -0.5, v0, v37
	v_add_f32_e32 v12, v12, v16
	v_sub_f32_e32 v0, v32, v2
	v_mov_b32_e32 v56, v58
	v_fmac_f32_e32 v57, 0x3e9e377a, v12
	v_fmac_f32_e32 v36, 0x3e9e377a, v12
	;; [unrolled: 1-line block ×3, first 2 shown]
	v_sub_f32_e32 v1, v14, v18
	v_sub_f32_e32 v2, v33, v15
	;; [unrolled: 1-line block ×3, first 2 shown]
	v_fmac_f32_e32 v58, 0xbf737871, v0
	v_fmac_f32_e32 v56, 0x3f167918, v1
	v_add_f32_e32 v2, v2, v12
	v_fmac_f32_e32 v58, 0xbf167918, v1
	v_fmac_f32_e32 v56, 0x3e9e377a, v2
	;; [unrolled: 1-line block ×3, first 2 shown]
	v_add_f32_e32 v2, v33, v3
	v_fmac_f32_e32 v37, -0.5, v2
	v_mov_b32_e32 v59, v37
	v_sub_f32_e32 v2, v15, v33
	v_sub_f32_e32 v3, v19, v3
	v_fmac_f32_e32 v37, 0x3f737871, v1
	v_fmac_f32_e32 v59, 0xbf737871, v1
	v_add_f32_e32 v2, v2, v3
	v_fmac_f32_e32 v37, 0xbf167918, v0
	v_fmac_f32_e32 v59, 0x3f167918, v0
	;; [unrolled: 1-line block ×4, first 2 shown]
	v_mul_f32_e32 v33, 0xbf737871, v37
	v_mul_f32_e32 v19, 0x3f167918, v13
	;; [unrolled: 1-line block ×5, first 2 shown]
	v_fmac_f32_e32 v33, 0xbe9e377a, v36
	v_mul_f32_e32 v55, 0xbf167918, v58
	v_fmac_f32_e32 v19, 0x3f4f1bbd, v56
	v_mul_f32_e32 v56, 0x3e9e377a, v59
	;; [unrolled: 2-line block ×3, first 2 shown]
	v_fmac_f32_e32 v18, 0x3f4f1bbd, v13
	v_fmac_f32_e32 v32, 0x3e9e377a, v57
	;; [unrolled: 1-line block ×5, first 2 shown]
	v_add_f32_e32 v0, v40, v39
	v_add_f32_e32 v2, v41, v18
	v_add_f32_e32 v12, v50, v32
	v_add_f32_e32 v14, v34, v33
	v_add_f32_e32 v16, v49, v55
	v_add_f32_e32 v1, v51, v54
	v_add_f32_e32 v3, v38, v19
	v_add_f32_e32 v13, v53, v56
	v_add_f32_e32 v15, v35, v37
	v_add_f32_e32 v17, v52, v36
	s_barrier
	s_and_saveexec_b64 s[12:13], s[0:1]
	s_cbranch_execz .LBB0_21
; %bb.20:
	v_sub_f32_e32 v59, v52, v36
	v_sub_f32_e32 v36, v50, v32
	v_lshlrev_b32_e32 v32, 3, v46
	v_sub_f32_e32 v57, v35, v37
	v_sub_f32_e32 v37, v53, v56
	;; [unrolled: 1-line block ×8, first 2 shown]
	ds_write_b128 v32, v[0:3]
	ds_write_b128 v32, v[12:15] offset:16
	ds_write_b128 v32, v[16:19] offset:32
	;; [unrolled: 1-line block ×4, first 2 shown]
.LBB0_21:
	s_or_b64 exec, exec, s[12:13]
	s_waitcnt lgkmcnt(0)
	s_barrier
	s_and_saveexec_b64 s[12:13], s[2:3]
	s_cbranch_execz .LBB0_23
; %bb.22:
	v_add_u32_e32 v12, 0x800, v43
	ds_read2_b64 v[0:3], v43 offset1:150
	ds_read2_b64 v[12:15], v12 offset0:44 offset1:194
	ds_read_b64 v[16:17], v43 offset:4800
.LBB0_23:
	s_or_b64 exec, exec, s[12:13]
	s_waitcnt lgkmcnt(2)
	v_mul_f32_e32 v18, v9, v3
	v_fmac_f32_e32 v18, v8, v2
	v_mul_f32_e32 v2, v9, v2
	v_fma_f32 v32, v8, v3, -v2
	s_waitcnt lgkmcnt(1)
	v_mul_f32_e32 v19, v11, v13
	v_mul_f32_e32 v2, v11, v12
	v_fmac_f32_e32 v19, v10, v12
	v_fma_f32 v11, v10, v13, -v2
	v_mul_f32_e32 v10, v5, v15
	v_mul_f32_e32 v2, v5, v14
	v_fmac_f32_e32 v10, v4, v14
	v_fma_f32 v5, v4, v15, -v2
	s_waitcnt lgkmcnt(0)
	v_mul_f32_e32 v4, v7, v17
	v_mul_f32_e32 v2, v7, v16
	v_fmac_f32_e32 v4, v6, v16
	v_fma_f32 v7, v6, v17, -v2
	v_add_f32_e32 v2, v19, v10
	v_fma_f32 v6, -0.5, v2, v0
	v_sub_f32_e32 v2, v18, v19
	v_sub_f32_e32 v3, v4, v10
	v_add_f32_e32 v15, v2, v3
	v_add_f32_e32 v2, v18, v4
	v_fma_f32 v12, -0.5, v2, v0
	v_sub_f32_e32 v2, v19, v18
	v_sub_f32_e32 v3, v10, v4
	v_add_f32_e32 v17, v2, v3
	;; [unrolled: 5-line block ×3, first 2 shown]
	v_add_f32_e32 v3, v32, v7
	v_fma_f32 v36, -0.5, v3, v1
	v_sub_f32_e32 v3, v11, v32
	v_sub_f32_e32 v37, v5, v7
	;; [unrolled: 1-line block ×4, first 2 shown]
	v_mov_b32_e32 v8, v6
	v_mov_b32_e32 v2, v12
	v_sub_f32_e32 v33, v18, v4
	v_sub_f32_e32 v34, v19, v10
	v_mov_b32_e32 v9, v16
	v_add_f32_e32 v37, v3, v37
	v_mov_b32_e32 v3, v36
	v_fmac_f32_e32 v8, 0x3f737871, v13
	v_fmac_f32_e32 v2, 0xbf737871, v14
	;; [unrolled: 1-line block ×12, first 2 shown]
	s_barrier
	s_and_saveexec_b64 s[12:13], s[2:3]
	s_cbranch_execz .LBB0_25
; %bb.24:
	v_add_f32_e32 v1, v1, v32
	v_mul_f32_e32 v39, 0x3f167918, v14
	v_mul_f32_e32 v14, 0x3f737871, v14
	v_add_f32_e32 v1, v1, v11
	v_mul_f32_e32 v41, 0x3f167918, v13
	v_add_f32_e32 v1, v1, v5
	v_add_f32_e32 v5, v14, v12
	v_mul_f32_e32 v38, 0x3f737871, v13
	v_mul_f32_e32 v40, 0x3e9e377a, v15
	;; [unrolled: 1-line block ×4, first 2 shown]
	v_sub_f32_e32 v5, v5, v41
	v_add_f32_e32 v0, v0, v18
	v_mul_f32_e32 v46, 0x3f167918, v34
	v_mul_f32_e32 v13, 0x3f737871, v34
	v_add_f32_e32 v15, v16, v15
	v_add_f32_e32 v12, v17, v5
	v_sub_f32_e32 v5, v6, v38
	v_add_f32_e32 v0, v0, v19
	v_mul_f32_e32 v35, 0x3e9e377a, v35
	v_mul_f32_e32 v33, 0x3f167918, v33
	v_sub_f32_e32 v13, v36, v13
	v_add_f32_e32 v15, v46, v15
	v_sub_f32_e32 v5, v5, v39
	v_add_f32_e32 v0, v0, v10
	v_mul_f32_e32 v34, 0x3e9e377a, v37
	v_add_f32_e32 v13, v33, v13
	v_add_f32_e32 v15, v35, v15
	;; [unrolled: 1-line block ×5, first 2 shown]
	v_add_lshl_u32 v4, v47, v45, 3
	v_add_f32_e32 v13, v34, v13
	ds_write2_b64 v4, v[0:1], v[14:15] offset1:10
	ds_write2_b64 v4, v[12:13], v[2:3] offset0:20 offset1:30
	ds_write_b64 v4, v[8:9] offset:320
.LBB0_25:
	s_or_b64 exec, exec, s[12:13]
	s_waitcnt lgkmcnt(0)
	s_barrier
	ds_read2_b64 v[10:13], v43 offset1:250
	ds_read_b64 v[0:1], v43 offset:4000
	s_waitcnt lgkmcnt(0)
	s_barrier
	v_mul_f32_e32 v7, v21, v13
	v_mul_f32_e32 v4, v21, v12
	v_fmac_f32_e32 v7, v20, v12
	v_fma_f32 v12, v20, v13, -v4
	v_mul_f32_e32 v13, v23, v1
	v_fmac_f32_e32 v13, v22, v0
	v_mul_f32_e32 v0, v23, v0
	v_fma_f32 v1, v22, v1, -v0
	v_add_f32_e32 v0, v10, v7
	v_add_f32_e32 v4, v0, v13
	;; [unrolled: 1-line block ×3, first 2 shown]
	v_fma_f32 v0, -0.5, v0, v10
	v_sub_f32_e32 v5, v12, v1
	v_mov_b32_e32 v6, v0
	v_fmac_f32_e32 v6, 0xbf5db3d7, v5
	v_fmac_f32_e32 v0, 0x3f5db3d7, v5
	v_add_f32_e32 v5, v11, v12
	v_add_f32_e32 v5, v5, v1
	;; [unrolled: 1-line block ×3, first 2 shown]
	v_fma_f32 v1, -0.5, v1, v11
	v_sub_f32_e32 v10, v7, v13
	v_mov_b32_e32 v7, v1
	v_fmac_f32_e32 v7, 0x3f5db3d7, v10
	v_fmac_f32_e32 v1, 0xbf5db3d7, v10
	ds_write2_b64 v48, v[4:5], v[6:7] offset1:50
	ds_write_b64 v48, v[0:1] offset:800
	s_waitcnt lgkmcnt(0)
	s_barrier
	s_and_saveexec_b64 s[12:13], s[2:3]
	s_cbranch_execz .LBB0_27
; %bb.26:
	v_add_u32_e32 v0, 0x800, v43
	ds_read2_b64 v[4:7], v43 offset1:150
	ds_read2_b64 v[0:3], v0 offset0:44 offset1:194
	ds_read_b64 v[8:9], v43 offset:4800
.LBB0_27:
	s_or_b64 exec, exec, s[12:13]
	s_and_saveexec_b64 s[12:13], s[2:3]
	s_cbranch_execz .LBB0_29
; %bb.28:
	s_waitcnt lgkmcnt(1)
	v_mul_f32_e32 v10, v31, v0
	v_fma_f32 v11, v30, v1, -v10
	v_mul_f32_e32 v10, v29, v6
	v_mul_f32_e32 v13, v25, v2
	s_waitcnt lgkmcnt(0)
	v_mul_f32_e32 v14, v27, v8
	v_fma_f32 v12, v28, v7, -v10
	v_fma_f32 v13, v24, v3, -v13
	;; [unrolled: 1-line block ×3, first 2 shown]
	v_mul_f32_e32 v17, v29, v7
	v_fmac_f32_e32 v17, v28, v6
	v_sub_f32_e32 v6, v12, v11
	v_sub_f32_e32 v7, v14, v13
	;; [unrolled: 1-line block ×4, first 2 shown]
	v_mul_f32_e32 v9, v27, v9
	v_add_f32_e32 v7, v6, v7
	v_add_f32_e32 v6, v11, v13
	;; [unrolled: 1-line block ×3, first 2 shown]
	v_mul_f32_e32 v15, v31, v1
	v_mul_f32_e32 v16, v25, v3
	v_add_f32_e32 v1, v12, v14
	v_fmac_f32_e32 v9, v26, v8
	v_fma_f32 v6, -0.5, v6, v5
	v_fmac_f32_e32 v15, v30, v0
	v_fmac_f32_e32 v16, v24, v2
	v_fma_f32 v1, -0.5, v1, v5
	v_sub_f32_e32 v2, v17, v9
	v_mov_b32_e32 v8, v6
	v_sub_f32_e32 v0, v15, v16
	v_mov_b32_e32 v3, v1
	v_fmac_f32_e32 v8, 0xbf737871, v2
	v_fmac_f32_e32 v6, 0x3f737871, v2
	;; [unrolled: 1-line block ×6, first 2 shown]
	v_add_f32_e32 v0, v5, v12
	v_add_f32_e32 v0, v0, v11
	v_fmac_f32_e32 v3, 0xbf167918, v2
	v_fmac_f32_e32 v1, 0x3f167918, v2
	v_add_f32_e32 v0, v0, v13
	v_fmac_f32_e32 v3, 0x3e9e377a, v10
	v_fmac_f32_e32 v1, 0x3e9e377a, v10
	v_add_f32_e32 v10, v0, v14
	v_sub_f32_e32 v0, v15, v17
	v_sub_f32_e32 v2, v16, v9
	v_add_f32_e32 v5, v0, v2
	v_add_f32_e32 v0, v17, v9
	v_fma_f32 v0, -0.5, v0, v4
	v_sub_f32_e32 v11, v11, v13
	v_mov_b32_e32 v2, v0
	v_sub_f32_e32 v12, v12, v14
	v_fmac_f32_e32 v2, 0xbf737871, v11
	v_fmac_f32_e32 v0, 0x3f737871, v11
	;; [unrolled: 1-line block ×8, first 2 shown]
	v_sub_f32_e32 v5, v17, v15
	v_sub_f32_e32 v7, v9, v16
	v_add_f32_e32 v13, v5, v7
	v_add_f32_e32 v5, v15, v16
	v_fma_f32 v5, -0.5, v5, v4
	v_add_f32_e32 v4, v4, v17
	v_mov_b32_e32 v7, v5
	v_fmac_f32_e32 v5, 0xbf737871, v12
	v_add_f32_e32 v4, v4, v15
	v_fmac_f32_e32 v7, 0x3f737871, v12
	v_fmac_f32_e32 v5, 0xbf167918, v11
	v_add_f32_e32 v4, v4, v16
	v_fmac_f32_e32 v7, 0x3f167918, v11
	v_fmac_f32_e32 v5, 0x3e9e377a, v13
	v_add_f32_e32 v9, v4, v9
	v_add_u32_e32 v4, 0x800, v43
	v_fmac_f32_e32 v7, 0x3e9e377a, v13
	ds_write2_b64 v43, v[9:10], v[5:6] offset1:150
	ds_write2_b64 v4, v[0:1], v[2:3] offset0:44 offset1:194
	ds_write_b64 v43, v[7:8] offset:4800
.LBB0_29:
	s_or_b64 exec, exec, s[12:13]
	s_waitcnt lgkmcnt(0)
	s_barrier
	s_and_b64 exec, exec, s[0:1]
	s_cbranch_execz .LBB0_31
; %bb.30:
	global_load_dwordx2 v[8:9], v43, s[10:11]
	global_load_dwordx2 v[10:11], v43, s[10:11] offset:600
	global_load_dwordx2 v[12:13], v43, s[10:11] offset:1200
	;; [unrolled: 1-line block ×3, first 2 shown]
	ds_read_b64 v[18:19], v43
	ds_read2_b64 v[0:3], v43 offset0:75 offset1:150
	global_load_dwordx2 v[22:23], v43, s[10:11] offset:2400
	global_load_dwordx2 v[24:25], v43, s[10:11] offset:3000
	;; [unrolled: 1-line block ×3, first 2 shown]
	v_mad_u64_u32 v[16:17], s[0:1], s6, v42, 0
	v_mad_u64_u32 v[20:21], s[2:3], s4, v44, 0
	s_mul_i32 s3, s5, 0x258
	s_mul_hi_u32 s6, s4, 0x258
	v_mov_b32_e32 v4, s11
	v_add_co_u32_e32 v30, vcc, s10, v43
	s_add_i32 s3, s6, s3
	s_waitcnt lgkmcnt(1)
	v_mad_u64_u32 v[32:33], s[6:7], s7, v42, v[17:18]
	s_mul_i32 s2, s4, 0x258
	s_movk_i32 s4, 0x1000
	v_addc_co_u32_e32 v31, vcc, 0, v4, vcc
	v_add_co_u32_e32 v30, vcc, s4, v30
	v_mov_b32_e32 v17, v32
	v_add_u32_e32 v5, 0x400, v43
	v_addc_co_u32_e32 v31, vcc, 0, v31, vcc
	v_lshlrev_b64 v[16:17], 3, v[16:17]
	ds_read_b64 v[28:29], v43 offset:5400
	ds_read2_b64 v[4:7], v5 offset0:97 offset1:172
	v_mov_b32_e32 v38, s9
	v_add_co_u32_e32 v16, vcc, s8, v16
	v_addc_co_u32_e32 v17, vcc, v38, v17, vcc
	v_mov_b32_e32 v39, s3
	s_mov_b32 s0, 0xc3ece2a5
	s_mov_b32 s1, 0x3f55d867
	v_mov_b32_e32 v40, s3
	s_waitcnt vmcnt(6)
	v_mul_f32_e32 v32, v19, v9
	v_mul_f32_e32 v9, v18, v9
	s_waitcnt vmcnt(4) lgkmcnt(2)
	v_mul_f32_e32 v38, v3, v13
	v_mul_f32_e32 v13, v2, v13
	s_waitcnt vmcnt(2)
	v_mad_u64_u32 v[33:34], s[4:5], s5, v44, v[21:22]
	global_load_dwordx2 v[34:35], v[30:31], off offset:104
	global_load_dwordx2 v[36:37], v[30:31], off offset:704
	v_fmac_f32_e32 v32, v18, v8
	v_mov_b32_e32 v21, v33
	v_lshlrev_b64 v[20:21], 3, v[20:21]
	v_mul_f32_e32 v33, v1, v11
	v_add_co_u32_e32 v16, vcc, v16, v20
	v_addc_co_u32_e32 v17, vcc, v17, v21, vcc
	v_add_co_u32_e32 v20, vcc, s2, v16
	v_mul_f32_e32 v11, v0, v11
	v_fma_f32 v8, v8, v19, -v9
	v_addc_co_u32_e32 v21, vcc, v17, v39, vcc
	s_waitcnt lgkmcnt(0)
	v_mul_f32_e32 v39, v5, v15
	v_mul_f32_e32 v15, v4, v15
	v_fmac_f32_e32 v33, v0, v10
	v_fma_f32 v9, v10, v1, -v11
	v_fmac_f32_e32 v38, v2, v12
	v_fma_f32 v12, v12, v3, -v13
	v_cvt_f64_f32_e32 v[0:1], v32
	v_cvt_f64_f32_e32 v[2:3], v8
	v_fmac_f32_e32 v39, v4, v14
	v_fma_f32 v18, v14, v5, -v15
	v_cvt_f64_f32_e32 v[4:5], v33
	v_cvt_f64_f32_e32 v[8:9], v9
	v_mul_f64 v[0:1], v[0:1], s[0:1]
	v_mul_f64 v[2:3], v[2:3], s[0:1]
	v_cvt_f64_f32_e32 v[10:11], v38
	v_mul_f64 v[4:5], v[4:5], s[0:1]
	v_mul_f64 v[8:9], v[8:9], s[0:1]
	v_cvt_f64_f32_e32 v[12:13], v12
	v_mul_f64 v[10:11], v[10:11], s[0:1]
	v_cvt_f64_f32_e32 v[14:15], v39
	v_cvt_f32_f64_e32 v0, v[0:1]
	v_cvt_f32_f64_e32 v1, v[2:3]
	v_cvt_f64_f32_e32 v[18:19], v18
	v_cvt_f32_f64_e32 v2, v[4:5]
	v_cvt_f32_f64_e32 v3, v[8:9]
	global_store_dwordx2 v[16:17], v[0:1], off
	global_store_dwordx2 v[20:21], v[2:3], off
	v_cvt_f32_f64_e32 v4, v[10:11]
	global_load_dwordx2 v[10:11], v[30:31], off offset:1304
	v_mul_f64 v[12:13], v[12:13], s[0:1]
	v_mul_f64 v[14:15], v[14:15], s[0:1]
	;; [unrolled: 1-line block ×3, first 2 shown]
	v_mul_f32_e32 v0, v7, v23
	v_fmac_f32_e32 v0, v6, v22
	v_add_co_u32_e32 v8, vcc, s2, v20
	v_addc_co_u32_e32 v9, vcc, v21, v40, vcc
	v_cvt_f32_f64_e32 v5, v[12:13]
	v_cvt_f64_f32_e32 v[12:13], v0
	v_mul_f32_e32 v0, v6, v23
	v_fma_f32 v0, v22, v7, -v0
	v_cvt_f64_f32_e32 v[6:7], v0
	v_add_u32_e32 v0, 0x800, v43
	ds_read2_b64 v[0:3], v0 offset0:119 offset1:194
	global_store_dwordx2 v[8:9], v[4:5], off
	v_cvt_f32_f64_e32 v4, v[14:15]
	v_cvt_f32_f64_e32 v5, v[18:19]
	v_mov_b32_e32 v14, s3
	v_add_co_u32_e32 v8, vcc, s2, v8
	v_addc_co_u32_e32 v9, vcc, v9, v14, vcc
	global_store_dwordx2 v[8:9], v[4:5], off
	v_mul_f64 v[4:5], v[12:13], s[0:1]
	s_waitcnt vmcnt(8) lgkmcnt(0)
	v_mul_f32_e32 v12, v1, v25
	v_mul_f64 v[6:7], v[6:7], s[0:1]
	v_fmac_f32_e32 v12, v0, v24
	v_mul_f32_e32 v0, v0, v25
	v_fma_f32 v0, v24, v1, -v0
	v_cvt_f64_f32_e32 v[0:1], v0
	v_cvt_f64_f32_e32 v[12:13], v12
	v_cvt_f32_f64_e32 v4, v[4:5]
	v_add_co_u32_e32 v8, vcc, s2, v8
	v_mul_f64 v[0:1], v[0:1], s[0:1]
	v_cvt_f32_f64_e32 v5, v[6:7]
	v_mul_f64 v[6:7], v[12:13], s[0:1]
	v_mov_b32_e32 v12, s3
	v_addc_co_u32_e32 v9, vcc, v9, v12, vcc
	global_store_dwordx2 v[8:9], v[4:5], off
	v_add_co_u32_e32 v8, vcc, s2, v8
	v_cvt_f32_f64_e32 v5, v[0:1]
	s_waitcnt vmcnt(8)
	v_mul_f32_e32 v0, v3, v27
	v_fmac_f32_e32 v0, v2, v26
	v_cvt_f32_f64_e32 v4, v[6:7]
	v_cvt_f64_f32_e32 v[6:7], v0
	v_mul_f32_e32 v0, v2, v27
	v_fma_f32 v0, v26, v3, -v0
	v_cvt_f64_f32_e32 v[12:13], v0
	v_add_u32_e32 v0, 0x1000, v43
	ds_read2_b64 v[0:3], v0 offset0:13 offset1:88
	v_addc_co_u32_e32 v9, vcc, v9, v14, vcc
	global_store_dwordx2 v[8:9], v[4:5], off
	v_mul_f64 v[4:5], v[6:7], s[0:1]
	v_mul_f64 v[6:7], v[12:13], s[0:1]
	s_waitcnt vmcnt(8) lgkmcnt(0)
	v_mul_f32_e32 v12, v1, v35
	v_fmac_f32_e32 v12, v0, v34
	v_mul_f32_e32 v0, v0, v35
	v_fma_f32 v0, v34, v1, -v0
	v_cvt_f64_f32_e32 v[0:1], v0
	v_cvt_f64_f32_e32 v[12:13], v12
	v_cvt_f32_f64_e32 v4, v[4:5]
	v_cvt_f32_f64_e32 v5, v[6:7]
	v_mul_f64 v[0:1], v[0:1], s[0:1]
	v_mul_f64 v[6:7], v[12:13], s[0:1]
	v_mov_b32_e32 v12, s3
	v_add_co_u32_e32 v8, vcc, s2, v8
	v_addc_co_u32_e32 v9, vcc, v9, v12, vcc
	global_store_dwordx2 v[8:9], v[4:5], off
	v_cvt_f32_f64_e32 v5, v[0:1]
	s_waitcnt vmcnt(8)
	v_mul_f32_e32 v0, v3, v37
	v_fmac_f32_e32 v0, v2, v36
	v_mul_f32_e32 v2, v2, v37
	v_fma_f32 v2, v36, v3, -v2
	v_cvt_f64_f32_e32 v[0:1], v0
	v_cvt_f64_f32_e32 v[2:3], v2
	v_cvt_f32_f64_e32 v4, v[6:7]
	v_mov_b32_e32 v7, s3
	v_add_co_u32_e32 v6, vcc, s2, v8
	v_mul_f64 v[0:1], v[0:1], s[0:1]
	v_mul_f64 v[2:3], v[2:3], s[0:1]
	v_addc_co_u32_e32 v7, vcc, v9, v7, vcc
	global_store_dwordx2 v[6:7], v[4:5], off
	s_waitcnt vmcnt(6)
	v_mul_f32_e32 v4, v29, v11
	v_mul_f32_e32 v8, v28, v11
	v_fmac_f32_e32 v4, v28, v10
	v_fma_f32 v8, v10, v29, -v8
	v_cvt_f64_f32_e32 v[4:5], v4
	v_cvt_f64_f32_e32 v[8:9], v8
	v_cvt_f32_f64_e32 v0, v[0:1]
	v_cvt_f32_f64_e32 v1, v[2:3]
	v_mul_f64 v[2:3], v[4:5], s[0:1]
	v_mul_f64 v[4:5], v[8:9], s[0:1]
	v_mov_b32_e32 v8, s3
	v_add_co_u32_e32 v6, vcc, s2, v6
	v_addc_co_u32_e32 v7, vcc, v7, v8, vcc
	global_store_dwordx2 v[6:7], v[0:1], off
	v_cvt_f32_f64_e32 v0, v[2:3]
	v_cvt_f32_f64_e32 v1, v[4:5]
	v_mov_b32_e32 v3, s3
	v_add_co_u32_e32 v2, vcc, s2, v6
	v_addc_co_u32_e32 v3, vcc, v7, v3, vcc
	global_store_dwordx2 v[2:3], v[0:1], off
.LBB0_31:
	s_endpgm
	.section	.rodata,"a",@progbits
	.p2align	6, 0x0
	.amdhsa_kernel bluestein_single_back_len750_dim1_sp_op_CI_CI
		.amdhsa_group_segment_fixed_size 6000
		.amdhsa_private_segment_fixed_size 0
		.amdhsa_kernarg_size 104
		.amdhsa_user_sgpr_count 6
		.amdhsa_user_sgpr_private_segment_buffer 1
		.amdhsa_user_sgpr_dispatch_ptr 0
		.amdhsa_user_sgpr_queue_ptr 0
		.amdhsa_user_sgpr_kernarg_segment_ptr 1
		.amdhsa_user_sgpr_dispatch_id 0
		.amdhsa_user_sgpr_flat_scratch_init 0
		.amdhsa_user_sgpr_private_segment_size 0
		.amdhsa_uses_dynamic_stack 0
		.amdhsa_system_sgpr_private_segment_wavefront_offset 0
		.amdhsa_system_sgpr_workgroup_id_x 1
		.amdhsa_system_sgpr_workgroup_id_y 0
		.amdhsa_system_sgpr_workgroup_id_z 0
		.amdhsa_system_sgpr_workgroup_info 0
		.amdhsa_system_vgpr_workitem_id 0
		.amdhsa_next_free_vgpr 64
		.amdhsa_next_free_sgpr 18
		.amdhsa_reserve_vcc 1
		.amdhsa_reserve_flat_scratch 0
		.amdhsa_float_round_mode_32 0
		.amdhsa_float_round_mode_16_64 0
		.amdhsa_float_denorm_mode_32 3
		.amdhsa_float_denorm_mode_16_64 3
		.amdhsa_dx10_clamp 1
		.amdhsa_ieee_mode 1
		.amdhsa_fp16_overflow 0
		.amdhsa_exception_fp_ieee_invalid_op 0
		.amdhsa_exception_fp_denorm_src 0
		.amdhsa_exception_fp_ieee_div_zero 0
		.amdhsa_exception_fp_ieee_overflow 0
		.amdhsa_exception_fp_ieee_underflow 0
		.amdhsa_exception_fp_ieee_inexact 0
		.amdhsa_exception_int_div_zero 0
	.end_amdhsa_kernel
	.text
.Lfunc_end0:
	.size	bluestein_single_back_len750_dim1_sp_op_CI_CI, .Lfunc_end0-bluestein_single_back_len750_dim1_sp_op_CI_CI
                                        ; -- End function
	.section	.AMDGPU.csdata,"",@progbits
; Kernel info:
; codeLenInByte = 7372
; NumSgprs: 22
; NumVgprs: 64
; ScratchSize: 0
; MemoryBound: 0
; FloatMode: 240
; IeeeMode: 1
; LDSByteSize: 6000 bytes/workgroup (compile time only)
; SGPRBlocks: 2
; VGPRBlocks: 15
; NumSGPRsForWavesPerEU: 22
; NumVGPRsForWavesPerEU: 64
; Occupancy: 4
; WaveLimiterHint : 1
; COMPUTE_PGM_RSRC2:SCRATCH_EN: 0
; COMPUTE_PGM_RSRC2:USER_SGPR: 6
; COMPUTE_PGM_RSRC2:TRAP_HANDLER: 0
; COMPUTE_PGM_RSRC2:TGID_X_EN: 1
; COMPUTE_PGM_RSRC2:TGID_Y_EN: 0
; COMPUTE_PGM_RSRC2:TGID_Z_EN: 0
; COMPUTE_PGM_RSRC2:TIDIG_COMP_CNT: 0
	.type	__hip_cuid_af65832fa664afd5,@object ; @__hip_cuid_af65832fa664afd5
	.section	.bss,"aw",@nobits
	.globl	__hip_cuid_af65832fa664afd5
__hip_cuid_af65832fa664afd5:
	.byte	0                               ; 0x0
	.size	__hip_cuid_af65832fa664afd5, 1

	.ident	"AMD clang version 19.0.0git (https://github.com/RadeonOpenCompute/llvm-project roc-6.4.0 25133 c7fe45cf4b819c5991fe208aaa96edf142730f1d)"
	.section	".note.GNU-stack","",@progbits
	.addrsig
	.addrsig_sym __hip_cuid_af65832fa664afd5
	.amdgpu_metadata
---
amdhsa.kernels:
  - .args:
      - .actual_access:  read_only
        .address_space:  global
        .offset:         0
        .size:           8
        .value_kind:     global_buffer
      - .actual_access:  read_only
        .address_space:  global
        .offset:         8
        .size:           8
        .value_kind:     global_buffer
      - .actual_access:  read_only
        .address_space:  global
        .offset:         16
        .size:           8
        .value_kind:     global_buffer
      - .actual_access:  read_only
        .address_space:  global
        .offset:         24
        .size:           8
        .value_kind:     global_buffer
      - .actual_access:  read_only
        .address_space:  global
        .offset:         32
        .size:           8
        .value_kind:     global_buffer
      - .offset:         40
        .size:           8
        .value_kind:     by_value
      - .address_space:  global
        .offset:         48
        .size:           8
        .value_kind:     global_buffer
      - .address_space:  global
        .offset:         56
        .size:           8
        .value_kind:     global_buffer
      - .address_space:  global
        .offset:         64
        .size:           8
        .value_kind:     global_buffer
      - .address_space:  global
        .offset:         72
        .size:           8
        .value_kind:     global_buffer
      - .offset:         80
        .size:           4
        .value_kind:     by_value
      - .address_space:  global
        .offset:         88
        .size:           8
        .value_kind:     global_buffer
      - .address_space:  global
        .offset:         96
        .size:           8
        .value_kind:     global_buffer
    .group_segment_fixed_size: 6000
    .kernarg_segment_align: 8
    .kernarg_segment_size: 104
    .language:       OpenCL C
    .language_version:
      - 2
      - 0
    .max_flat_workgroup_size: 250
    .name:           bluestein_single_back_len750_dim1_sp_op_CI_CI
    .private_segment_fixed_size: 0
    .sgpr_count:     22
    .sgpr_spill_count: 0
    .symbol:         bluestein_single_back_len750_dim1_sp_op_CI_CI.kd
    .uniform_work_group_size: 1
    .uses_dynamic_stack: false
    .vgpr_count:     64
    .vgpr_spill_count: 0
    .wavefront_size: 64
amdhsa.target:   amdgcn-amd-amdhsa--gfx906
amdhsa.version:
  - 1
  - 2
...

	.end_amdgpu_metadata
